;; amdgpu-corpus repo=ROCm/rocFFT kind=compiled arch=gfx1030 opt=O3
	.text
	.amdgcn_target "amdgcn-amd-amdhsa--gfx1030"
	.amdhsa_code_object_version 6
	.protected	fft_rtc_back_len1183_factors_7_13_13_wgs_182_tpt_91_halfLds_sp_op_CI_CI_unitstride_sbrr_dirReg ; -- Begin function fft_rtc_back_len1183_factors_7_13_13_wgs_182_tpt_91_halfLds_sp_op_CI_CI_unitstride_sbrr_dirReg
	.globl	fft_rtc_back_len1183_factors_7_13_13_wgs_182_tpt_91_halfLds_sp_op_CI_CI_unitstride_sbrr_dirReg
	.p2align	8
	.type	fft_rtc_back_len1183_factors_7_13_13_wgs_182_tpt_91_halfLds_sp_op_CI_CI_unitstride_sbrr_dirReg,@function
fft_rtc_back_len1183_factors_7_13_13_wgs_182_tpt_91_halfLds_sp_op_CI_CI_unitstride_sbrr_dirReg: ; @fft_rtc_back_len1183_factors_7_13_13_wgs_182_tpt_91_halfLds_sp_op_CI_CI_unitstride_sbrr_dirReg
; %bb.0:
	s_clause 0x2
	s_load_dwordx4 s[12:15], s[4:5], 0x0
	s_load_dwordx4 s[8:11], s[4:5], 0x58
	;; [unrolled: 1-line block ×3, first 2 shown]
	v_mul_u32_u24_e32 v1, 0x2d1, v0
	v_mov_b32_e32 v3, 0
	v_mov_b32_e32 v6, 0
	;; [unrolled: 1-line block ×3, first 2 shown]
	v_lshrrev_b32_e32 v44, 16, v1
	v_mov_b32_e32 v9, v3
	v_lshl_add_u32 v8, s6, 1, v44
	s_waitcnt lgkmcnt(0)
	v_cmp_lt_u64_e64 s0, s[14:15], 2
	s_and_b32 vcc_lo, exec_lo, s0
	s_cbranch_vccnz .LBB0_8
; %bb.1:
	s_load_dwordx2 s[0:1], s[4:5], 0x10
	v_mov_b32_e32 v6, 0
	v_mov_b32_e32 v7, 0
	s_add_u32 s2, s18, 8
	s_addc_u32 s3, s19, 0
	v_mov_b32_e32 v1, v6
	s_add_u32 s6, s16, 8
	v_mov_b32_e32 v2, v7
	s_addc_u32 s7, s17, 0
	s_mov_b64 s[22:23], 1
	s_waitcnt lgkmcnt(0)
	s_add_u32 s20, s0, 8
	s_addc_u32 s21, s1, 0
.LBB0_2:                                ; =>This Inner Loop Header: Depth=1
	s_load_dwordx2 s[24:25], s[20:21], 0x0
	s_waitcnt lgkmcnt(0)
	v_or_b32_e32 v4, s25, v9
	v_cmp_ne_u64_e32 vcc_lo, 0, v[3:4]
                                        ; implicit-def: $vgpr4_vgpr5
	s_and_saveexec_b32 s0, vcc_lo
	s_xor_b32 s1, exec_lo, s0
	s_cbranch_execz .LBB0_4
; %bb.3:                                ;   in Loop: Header=BB0_2 Depth=1
	v_cvt_f32_u32_e32 v4, s24
	v_cvt_f32_u32_e32 v5, s25
	s_sub_u32 s0, 0, s24
	s_subb_u32 s26, 0, s25
	v_fmac_f32_e32 v4, 0x4f800000, v5
	v_rcp_f32_e32 v4, v4
	v_mul_f32_e32 v4, 0x5f7ffffc, v4
	v_mul_f32_e32 v5, 0x2f800000, v4
	v_trunc_f32_e32 v5, v5
	v_fmac_f32_e32 v4, 0xcf800000, v5
	v_cvt_u32_f32_e32 v5, v5
	v_cvt_u32_f32_e32 v4, v4
	v_mul_lo_u32 v10, s0, v5
	v_mul_hi_u32 v11, s0, v4
	v_mul_lo_u32 v12, s26, v4
	v_add_nc_u32_e32 v10, v11, v10
	v_mul_lo_u32 v11, s0, v4
	v_add_nc_u32_e32 v10, v10, v12
	v_mul_hi_u32 v12, v4, v11
	v_mul_lo_u32 v13, v4, v10
	v_mul_hi_u32 v14, v4, v10
	v_mul_hi_u32 v15, v5, v11
	v_mul_lo_u32 v11, v5, v11
	v_mul_hi_u32 v16, v5, v10
	v_mul_lo_u32 v10, v5, v10
	v_add_co_u32 v12, vcc_lo, v12, v13
	v_add_co_ci_u32_e32 v13, vcc_lo, 0, v14, vcc_lo
	v_add_co_u32 v11, vcc_lo, v12, v11
	v_add_co_ci_u32_e32 v11, vcc_lo, v13, v15, vcc_lo
	v_add_co_ci_u32_e32 v12, vcc_lo, 0, v16, vcc_lo
	v_add_co_u32 v10, vcc_lo, v11, v10
	v_add_co_ci_u32_e32 v11, vcc_lo, 0, v12, vcc_lo
	v_add_co_u32 v4, vcc_lo, v4, v10
	v_add_co_ci_u32_e32 v5, vcc_lo, v5, v11, vcc_lo
	v_mul_hi_u32 v10, s0, v4
	v_mul_lo_u32 v12, s26, v4
	v_mul_lo_u32 v11, s0, v5
	v_add_nc_u32_e32 v10, v10, v11
	v_mul_lo_u32 v11, s0, v4
	v_add_nc_u32_e32 v10, v10, v12
	v_mul_hi_u32 v12, v4, v11
	v_mul_lo_u32 v13, v4, v10
	v_mul_hi_u32 v14, v4, v10
	v_mul_hi_u32 v15, v5, v11
	v_mul_lo_u32 v11, v5, v11
	v_mul_hi_u32 v16, v5, v10
	v_mul_lo_u32 v10, v5, v10
	v_add_co_u32 v12, vcc_lo, v12, v13
	v_add_co_ci_u32_e32 v13, vcc_lo, 0, v14, vcc_lo
	v_add_co_u32 v11, vcc_lo, v12, v11
	v_add_co_ci_u32_e32 v11, vcc_lo, v13, v15, vcc_lo
	v_add_co_ci_u32_e32 v12, vcc_lo, 0, v16, vcc_lo
	v_add_co_u32 v10, vcc_lo, v11, v10
	v_add_co_ci_u32_e32 v11, vcc_lo, 0, v12, vcc_lo
	v_add_co_u32 v10, vcc_lo, v4, v10
	v_add_co_ci_u32_e32 v12, vcc_lo, v5, v11, vcc_lo
	v_mul_hi_u32 v14, v8, v10
	v_mad_u64_u32 v[10:11], null, v9, v10, 0
	v_mad_u64_u32 v[4:5], null, v8, v12, 0
	v_mad_u64_u32 v[12:13], null, v9, v12, 0
	v_add_co_u32 v4, vcc_lo, v14, v4
	v_add_co_ci_u32_e32 v5, vcc_lo, 0, v5, vcc_lo
	v_add_co_u32 v4, vcc_lo, v4, v10
	v_add_co_ci_u32_e32 v4, vcc_lo, v5, v11, vcc_lo
	v_add_co_ci_u32_e32 v5, vcc_lo, 0, v13, vcc_lo
	v_add_co_u32 v10, vcc_lo, v4, v12
	v_add_co_ci_u32_e32 v11, vcc_lo, 0, v5, vcc_lo
	v_mul_lo_u32 v12, s25, v10
	v_mad_u64_u32 v[4:5], null, s24, v10, 0
	v_mul_lo_u32 v13, s24, v11
	v_sub_co_u32 v4, vcc_lo, v8, v4
	v_add3_u32 v5, v5, v13, v12
	v_sub_nc_u32_e32 v12, v9, v5
	v_subrev_co_ci_u32_e64 v12, s0, s25, v12, vcc_lo
	v_add_co_u32 v13, s0, v10, 2
	v_add_co_ci_u32_e64 v14, s0, 0, v11, s0
	v_sub_co_u32 v15, s0, v4, s24
	v_sub_co_ci_u32_e32 v5, vcc_lo, v9, v5, vcc_lo
	v_subrev_co_ci_u32_e64 v12, s0, 0, v12, s0
	v_cmp_le_u32_e32 vcc_lo, s24, v15
	v_cmp_eq_u32_e64 s0, s25, v5
	v_cndmask_b32_e64 v15, 0, -1, vcc_lo
	v_cmp_le_u32_e32 vcc_lo, s25, v12
	v_cndmask_b32_e64 v16, 0, -1, vcc_lo
	v_cmp_le_u32_e32 vcc_lo, s24, v4
	;; [unrolled: 2-line block ×3, first 2 shown]
	v_cndmask_b32_e64 v17, 0, -1, vcc_lo
	v_cmp_eq_u32_e32 vcc_lo, s25, v12
	v_cndmask_b32_e64 v4, v17, v4, s0
	v_cndmask_b32_e32 v12, v16, v15, vcc_lo
	v_add_co_u32 v15, vcc_lo, v10, 1
	v_add_co_ci_u32_e32 v16, vcc_lo, 0, v11, vcc_lo
	v_cmp_ne_u32_e32 vcc_lo, 0, v12
	v_cndmask_b32_e32 v5, v16, v14, vcc_lo
	v_cndmask_b32_e32 v12, v15, v13, vcc_lo
	v_cmp_ne_u32_e32 vcc_lo, 0, v4
	v_cndmask_b32_e32 v5, v11, v5, vcc_lo
	v_cndmask_b32_e32 v4, v10, v12, vcc_lo
.LBB0_4:                                ;   in Loop: Header=BB0_2 Depth=1
	s_andn2_saveexec_b32 s0, s1
	s_cbranch_execz .LBB0_6
; %bb.5:                                ;   in Loop: Header=BB0_2 Depth=1
	v_cvt_f32_u32_e32 v4, s24
	s_sub_i32 s1, 0, s24
	v_rcp_iflag_f32_e32 v4, v4
	v_mul_f32_e32 v4, 0x4f7ffffe, v4
	v_cvt_u32_f32_e32 v4, v4
	v_mul_lo_u32 v5, s1, v4
	v_mul_hi_u32 v5, v4, v5
	v_add_nc_u32_e32 v4, v4, v5
	v_mul_hi_u32 v4, v8, v4
	v_mul_lo_u32 v5, v4, s24
	v_add_nc_u32_e32 v10, 1, v4
	v_sub_nc_u32_e32 v5, v8, v5
	v_subrev_nc_u32_e32 v11, s24, v5
	v_cmp_le_u32_e32 vcc_lo, s24, v5
	v_cndmask_b32_e32 v5, v5, v11, vcc_lo
	v_cndmask_b32_e32 v4, v4, v10, vcc_lo
	v_cmp_le_u32_e32 vcc_lo, s24, v5
	v_add_nc_u32_e32 v10, 1, v4
	v_mov_b32_e32 v5, v3
	v_cndmask_b32_e32 v4, v4, v10, vcc_lo
.LBB0_6:                                ;   in Loop: Header=BB0_2 Depth=1
	s_or_b32 exec_lo, exec_lo, s0
	v_mul_lo_u32 v12, v5, s24
	v_mul_lo_u32 v13, v4, s25
	s_load_dwordx2 s[0:1], s[6:7], 0x0
	v_mad_u64_u32 v[10:11], null, v4, s24, 0
	s_load_dwordx2 s[24:25], s[2:3], 0x0
	s_add_u32 s22, s22, 1
	s_addc_u32 s23, s23, 0
	s_add_u32 s2, s2, 8
	s_addc_u32 s3, s3, 0
	s_add_u32 s6, s6, 8
	v_add3_u32 v11, v11, v13, v12
	v_sub_co_u32 v8, vcc_lo, v8, v10
	s_addc_u32 s7, s7, 0
	s_add_u32 s20, s20, 8
	v_sub_co_ci_u32_e32 v9, vcc_lo, v9, v11, vcc_lo
	s_addc_u32 s21, s21, 0
	s_waitcnt lgkmcnt(0)
	v_mul_lo_u32 v10, s0, v9
	v_mul_lo_u32 v11, s1, v8
	v_mad_u64_u32 v[6:7], null, s0, v8, v[6:7]
	v_mul_lo_u32 v9, s24, v9
	v_mul_lo_u32 v12, s25, v8
	v_mad_u64_u32 v[1:2], null, s24, v8, v[1:2]
	v_cmp_ge_u64_e64 s0, s[22:23], s[14:15]
	v_add3_u32 v7, v11, v7, v10
	v_add3_u32 v2, v12, v2, v9
	s_and_b32 vcc_lo, exec_lo, s0
	s_cbranch_vccnz .LBB0_9
; %bb.7:                                ;   in Loop: Header=BB0_2 Depth=1
	v_mov_b32_e32 v9, v5
	v_mov_b32_e32 v8, v4
	s_branch .LBB0_2
.LBB0_8:
	v_mov_b32_e32 v1, v6
	v_mov_b32_e32 v4, v8
	;; [unrolled: 1-line block ×4, first 2 shown]
.LBB0_9:
	s_load_dwordx2 s[0:1], s[4:5], 0x28
	v_mul_hi_u32 v9, 0x2d02d03, v0
	s_lshl_b64 s[4:5], s[14:15], 3
                                        ; implicit-def: $sgpr6
                                        ; implicit-def: $sgpr7
                                        ; implicit-def: $vgpr43
	s_add_u32 s2, s18, s4
	s_addc_u32 s3, s19, s5
	s_waitcnt lgkmcnt(0)
	v_cmp_gt_u64_e32 vcc_lo, s[0:1], v[4:5]
	v_cmp_le_u64_e64 s0, s[0:1], v[4:5]
	s_and_saveexec_b32 s1, s0
	s_xor_b32 s0, exec_lo, s1
; %bb.10:
	v_mul_u32_u24_e32 v3, 0x5b, v9
	s_mov_b32 s7, 0
	s_mov_b32 s6, 0
                                        ; implicit-def: $vgpr9
                                        ; implicit-def: $vgpr6_vgpr7
	v_sub_nc_u32_e32 v43, v0, v3
                                        ; implicit-def: $vgpr0
; %bb.11:
	s_or_saveexec_b32 s1, s0
	s_load_dwordx2 s[2:3], s[2:3], 0x0
	v_mov_b32_e32 v18, s7
	v_mov_b32_e32 v3, s6
	;; [unrolled: 1-line block ×9, first 2 shown]
                                        ; implicit-def: $vgpr8
                                        ; implicit-def: $vgpr12
                                        ; implicit-def: $vgpr10
                                        ; implicit-def: $vgpr14
                                        ; implicit-def: $vgpr16
                                        ; implicit-def: $vgpr32
                                        ; implicit-def: $vgpr34
                                        ; implicit-def: $vgpr30
                                        ; implicit-def: $vgpr28
                                        ; implicit-def: $vgpr26
	s_xor_b32 exec_lo, exec_lo, s1
	s_cbranch_execz .LBB0_15
; %bb.12:
	s_add_u32 s4, s16, s4
	s_addc_u32 s5, s17, s5
	v_lshlrev_b64 v[6:7], 3, v[6:7]
	s_load_dwordx2 s[4:5], s[4:5], 0x0
	v_mov_b32_e32 v19, 0
	v_mov_b32_e32 v20, 0
	;; [unrolled: 1-line block ×8, first 2 shown]
                                        ; implicit-def: $vgpr25
                                        ; implicit-def: $vgpr27
                                        ; implicit-def: $vgpr29
	s_waitcnt lgkmcnt(0)
	v_mul_lo_u32 v3, s5, v4
	v_mul_lo_u32 v8, s4, v5
	v_mad_u64_u32 v[10:11], null, s4, v4, 0
	s_mov_b32 s4, exec_lo
	v_add3_u32 v11, v11, v8, v3
	v_mul_u32_u24_e32 v3, 0x5b, v9
	v_lshlrev_b64 v[8:9], 3, v[10:11]
	v_sub_nc_u32_e32 v43, v0, v3
	v_add_co_u32 v0, s0, s8, v8
	v_add_co_ci_u32_e64 v3, s0, s9, v9, s0
	v_lshlrev_b32_e32 v8, 3, v43
	v_add_co_u32 v0, s0, v0, v6
	v_add_co_ci_u32_e64 v3, s0, v3, v7, s0
	v_add_co_u32 v35, s0, v0, v8
	v_add_co_ci_u32_e64 v36, s0, 0, v3, s0
	;; [unrolled: 2-line block ×5, first 2 shown]
	s_clause 0x6
	global_load_dwordx2 v[7:8], v[35:36], off
	global_load_dwordx2 v[11:12], v[35:36], off offset:1352
	global_load_dwordx2 v[9:10], v[37:38], off offset:656
	;; [unrolled: 1-line block ×6, first 2 shown]
	v_cmpx_gt_u32_e32 0x4e, v43
; %bb.13:
	v_add_co_u32 v29, s0, 0x2000, v35
	v_add_co_ci_u32_e64 v30, s0, 0, v36, s0
	s_clause 0x6
	global_load_dwordx2 v[17:18], v[35:36], off offset:728
	global_load_dwordx2 v[23:24], v[37:38], off offset:32
	global_load_dwordx2 v[21:22], v[37:38], off offset:1384
	global_load_dwordx2 v[25:26], v[39:40], off offset:688
	global_load_dwordx2 v[19:20], v[39:40], off offset:2040
	global_load_dwordx2 v[27:28], v[41:42], off offset:1344
	global_load_dwordx2 v[29:30], v[29:30], off offset:648
; %bb.14:
	s_or_b32 exec_lo, exec_lo, s4
	v_mov_b32_e32 v3, v43
.LBB0_15:
	s_or_b32 exec_lo, exec_lo, s1
	s_waitcnt vmcnt(0)
	v_add_f32_e32 v6, v11, v33
	v_add_f32_e32 v36, v9, v31
	;; [unrolled: 1-line block ×3, first 2 shown]
	v_sub_f32_e32 v38, v10, v32
	v_sub_f32_e32 v39, v16, v14
	;; [unrolled: 1-line block ×3, first 2 shown]
	v_add_f32_e32 v40, v36, v6
	v_sub_f32_e32 v41, v36, v6
	v_sub_f32_e32 v6, v6, v37
	;; [unrolled: 1-line block ×3, first 2 shown]
	v_add_f32_e32 v42, v39, v38
	v_add_f32_e32 v37, v37, v40
	v_sub_f32_e32 v40, v39, v38
	v_sub_f32_e32 v38, v38, v35
	v_and_b32_e32 v0, 1, v44
	v_sub_f32_e32 v39, v35, v39
	v_add_f32_e32 v35, v42, v35
	v_add_f32_e32 v7, v37, v7
	v_mul_f32_e32 v6, 0x3f4a47b2, v6
	v_mul_f32_e32 v42, 0x3d64c772, v36
	;; [unrolled: 1-line block ×4, first 2 shown]
	v_cmp_eq_u32_e64 s0, 1, v0
	v_fmamk_f32 v37, v37, 0xbf955555, v7
	v_fmamk_f32 v36, v36, 0x3d64c772, v6
	v_fma_f32 v42, 0x3f3bfb3b, v41, -v42
	v_fma_f32 v6, 0xbf3bfb3b, v41, -v6
	v_fmamk_f32 v41, v39, 0xbeae86e6, v40
	v_fma_f32 v38, 0xbf5ff5aa, v38, -v40
	v_fma_f32 v40, 0x3eae86e6, v39, -v44
	v_cndmask_b32_e64 v0, 0, 0x49f, s0
	v_add_f32_e32 v36, v36, v37
	v_add_f32_e32 v42, v42, v37
	;; [unrolled: 1-line block ×3, first 2 shown]
	v_fmac_f32_e32 v41, 0xbee1c552, v35
	v_mad_u32_u24 v6, v43, 28, 0
	v_fmac_f32_e32 v40, 0xbee1c552, v35
	v_fmac_f32_e32 v38, 0xbee1c552, v35
	v_cmp_gt_u32_e64 s0, 0x4e, v43
	v_add_f32_e32 v35, v41, v36
	v_lshl_add_u32 v39, v0, 2, v6
	v_add_f32_e32 v44, v40, v37
	v_sub_f32_e32 v45, v42, v38
	v_add_f32_e32 v38, v38, v42
	v_sub_f32_e32 v37, v37, v40
	v_sub_f32_e32 v36, v36, v41
	ds_write2_b32 v39, v7, v35 offset1:1
	ds_write2_b32 v39, v44, v45 offset0:2 offset1:3
	ds_write2_b32 v39, v38, v37 offset0:4 offset1:5
	ds_write_b32 v39, v36 offset:24
	s_and_saveexec_b32 s1, s0
	s_cbranch_execz .LBB0_17
; %bb.16:
	v_add_f32_e32 v35, v21, v27
	v_add_f32_e32 v36, v23, v29
	;; [unrolled: 1-line block ×3, first 2 shown]
	v_sub_f32_e32 v37, v20, v26
	v_sub_f32_e32 v41, v22, v28
	;; [unrolled: 1-line block ×3, first 2 shown]
	v_add_f32_e32 v40, v36, v35
	v_sub_f32_e32 v38, v7, v35
	v_sub_f32_e32 v44, v36, v7
	;; [unrolled: 1-line block ×4, first 2 shown]
	v_add_f32_e32 v7, v40, v7
	v_sub_f32_e32 v40, v37, v41
	v_mul_f32_e32 v38, 0x3d64c772, v38
	v_mul_f32_e32 v46, 0x3f4a47b2, v44
	v_sub_f32_e32 v47, v42, v37
	v_add_f32_e32 v17, v17, v7
	v_add_f32_e32 v37, v41, v37
	v_mul_f32_e32 v36, 0xbf5ff5aa, v45
	v_mul_f32_e32 v40, 0x3f08b237, v40
	v_fmamk_f32 v44, v44, 0x3f4a47b2, v38
	v_fmamk_f32 v7, v7, 0xbf955555, v17
	v_add_f32_e32 v37, v42, v37
	v_fma_f32 v41, 0xbf3bfb3b, v35, -v46
	v_fma_f32 v36, 0x3eae86e6, v47, -v36
	;; [unrolled: 1-line block ×4, first 2 shown]
	v_fmamk_f32 v38, v47, 0xbeae86e6, v40
	v_add_f32_e32 v40, v41, v7
	v_fmac_f32_e32 v36, 0xbee1c552, v37
	v_fmac_f32_e32 v42, 0xbee1c552, v37
	v_add_f32_e32 v35, v35, v7
	v_add_f32_e32 v7, v44, v7
	v_fmac_f32_e32 v38, 0xbee1c552, v37
	v_sub_f32_e32 v37, v40, v36
	v_add_f32_e32 v36, v36, v40
	v_add_f32_e32 v41, v42, v35
	v_sub_f32_e32 v35, v35, v42
	v_add_f32_e32 v40, v38, v7
	v_add_nc_u32_e32 v42, 0x9f4, v39
	v_add_nc_u32_e32 v44, 0x9fc, v39
	;; [unrolled: 1-line block ×3, first 2 shown]
	v_sub_f32_e32 v7, v7, v38
	ds_write2_b32 v42, v17, v40 offset1:1
	ds_write2_b32 v44, v36, v35 offset1:1
	;; [unrolled: 1-line block ×3, first 2 shown]
	ds_write_b32 v39, v7 offset:2572
.LBB0_17:
	s_or_b32 exec_lo, exec_lo, s1
	v_add_f32_e32 v7, v12, v34
	v_add_f32_e32 v10, v10, v32
	v_add_f32_e32 v12, v14, v16
	v_sub_f32_e32 v13, v15, v13
	v_sub_f32_e32 v11, v11, v33
	;; [unrolled: 1-line block ×3, first 2 shown]
	v_add_f32_e32 v14, v10, v7
	v_sub_f32_e32 v15, v10, v7
	v_sub_f32_e32 v7, v7, v12
	v_sub_f32_e32 v10, v12, v10
	v_lshlrev_b32_e32 v34, 2, v0
	v_add_f32_e32 v12, v12, v14
	v_lshlrev_b32_e32 v0, 2, v43
	v_mul_f32_e32 v7, 0x3f4a47b2, v7
	v_add_f32_e32 v16, v13, v9
	v_sub_f32_e32 v14, v13, v9
	v_add_f32_e32 v41, v12, v8
	v_mul_f32_e32 v8, 0x3d64c772, v10
	v_fmamk_f32 v10, v10, 0x3d64c772, v7
	v_fma_f32 v44, 0xbf3bfb3b, v15, -v7
	v_mul_i32_i24_e32 v7, 0xffffffe8, v43
	v_sub_f32_e32 v9, v9, v11
	v_add3_u32 v31, 0, v34, v0
	v_sub_f32_e32 v13, v11, v13
	v_add_f32_e32 v40, v16, v11
	v_add3_u32 v0, v6, v7, v34
	v_mul_f32_e32 v11, 0x3f08b237, v14
	v_mul_f32_e32 v14, 0xbf5ff5aa, v9
	v_fmamk_f32 v42, v12, 0xbf955555, v41
	v_fma_f32 v8, 0x3f3bfb3b, v15, -v8
	v_add_nc_u32_e32 v32, 0x400, v0
	v_add_nc_u32_e32 v33, 0x600, v0
	;; [unrolled: 1-line block ×5, first 2 shown]
	v_fmamk_f32 v45, v13, 0xbeae86e6, v11
	v_fma_f32 v46, 0xbf5ff5aa, v9, -v11
	v_fma_f32 v47, 0x3eae86e6, v13, -v14
	v_add_f32_e32 v48, v10, v42
	v_add_f32_e32 v49, v8, v42
	s_waitcnt lgkmcnt(0)
	s_barrier
	buffer_gl0_inv
	ds_read_b32 v38, v31
	ds_read2_b32 v[12:13], v0 offset0:91 offset1:182
	ds_read2_b32 v[16:17], v32 offset0:17 offset1:108
	;; [unrolled: 1-line block ×6, first 2 shown]
	v_fmac_f32_e32 v45, 0xbee1c552, v40
	v_add_f32_e32 v42, v44, v42
	v_fmac_f32_e32 v47, 0xbee1c552, v40
	v_fmac_f32_e32 v46, 0xbee1c552, v40
	s_waitcnt lgkmcnt(0)
	v_sub_f32_e32 v40, v48, v45
	v_add_f32_e32 v45, v45, v48
	v_sub_f32_e32 v44, v42, v47
	v_add_f32_e32 v50, v46, v49
	;; [unrolled: 2-line block ×3, first 2 shown]
	s_barrier
	buffer_gl0_inv
	ds_write2_b32 v39, v41, v40 offset1:1
	ds_write2_b32 v39, v44, v50 offset0:2 offset1:3
	ds_write2_b32 v39, v46, v42 offset0:4 offset1:5
	ds_write_b32 v39, v45 offset:24
	s_and_saveexec_b32 s1, s0
	s_cbranch_execz .LBB0_19
; %bb.18:
	v_add_f32_e32 v24, v24, v30
	v_add_f32_e32 v22, v22, v28
	v_sub_f32_e32 v23, v23, v29
	v_add_f32_e32 v20, v20, v26
	v_sub_f32_e32 v21, v21, v27
	v_sub_f32_e32 v19, v19, v25
	v_add_f32_e32 v25, v24, v22
	v_sub_f32_e32 v26, v22, v24
	v_sub_f32_e32 v24, v24, v20
	;; [unrolled: 1-line block ×3, first 2 shown]
	v_add_f32_e32 v27, v21, v19
	v_add_f32_e32 v20, v25, v20
	v_sub_f32_e32 v25, v19, v21
	v_sub_f32_e32 v21, v21, v23
	;; [unrolled: 1-line block ×3, first 2 shown]
	v_add_f32_e32 v23, v23, v27
	v_add_f32_e32 v18, v18, v20
	v_mul_f32_e32 v22, 0x3d64c772, v22
	v_mul_f32_e32 v27, 0x3f4a47b2, v24
	;; [unrolled: 1-line block ×4, first 2 shown]
	v_fmamk_f32 v20, v20, 0xbf955555, v18
	v_fmamk_f32 v24, v24, 0x3f4a47b2, v22
	v_fma_f32 v22, 0x3f3bfb3b, v26, -v22
	v_fma_f32 v26, 0xbf3bfb3b, v26, -v27
	v_fmamk_f32 v27, v19, 0xbeae86e6, v25
	v_fma_f32 v21, 0xbf5ff5aa, v21, -v25
	v_fma_f32 v19, 0x3eae86e6, v19, -v28
	v_add_nc_u32_e32 v25, 0x5b, v43
	v_add_f32_e32 v24, v24, v20
	v_fmac_f32_e32 v27, 0xbee1c552, v23
	v_fmac_f32_e32 v21, 0xbee1c552, v23
	;; [unrolled: 1-line block ×3, first 2 shown]
	v_mul_u32_u24_e32 v23, 28, v25
	v_add_f32_e32 v22, v22, v20
	v_add_f32_e32 v20, v26, v20
	v_sub_f32_e32 v25, v24, v27
	v_add3_u32 v23, 0, v23, v34
	v_add_f32_e32 v28, v22, v21
	v_sub_f32_e32 v26, v20, v19
	v_sub_f32_e32 v21, v22, v21
	v_add_f32_e32 v19, v20, v19
	v_add_f32_e32 v20, v24, v27
	ds_write2_b32 v23, v18, v25 offset1:1
	ds_write2_b32 v23, v26, v28 offset0:2 offset1:3
	ds_write2_b32 v23, v21, v19 offset0:4 offset1:5
	ds_write_b32 v23, v20 offset:24
.LBB0_19:
	s_or_b32 exec_lo, exec_lo, s1
	v_and_b32_e32 v18, 0xff, v43
	v_mov_b32_e32 v20, 12
	s_waitcnt lgkmcnt(0)
	s_barrier
	buffer_gl0_inv
	v_mul_lo_u16 v18, v18, 37
	v_lshrrev_b16 v18, 8, v18
	v_sub_nc_u16 v19, v43, v18
	v_lshrrev_b16 v19, 1, v19
	v_and_b32_e32 v19, 0x7f, v19
	v_add_nc_u16 v18, v19, v18
	v_lshrrev_b16 v19, 2, v18
	v_mul_lo_u16 v18, v19, 7
	v_and_b32_e32 v19, 0xffff, v19
	v_sub_nc_u16 v18, v43, v18
	v_mad_u32_u24 v19, 0x16c, v19, 0
	v_mul_u32_u24_sdwa v20, v18, v20 dst_sel:DWORD dst_unused:UNUSED_PAD src0_sel:BYTE_0 src1_sel:DWORD
	v_lshlrev_b32_e32 v20, 3, v20
	s_clause 0x5
	global_load_dwordx4 v[44:47], v20, s[12:13]
	global_load_dwordx4 v[48:51], v20, s[12:13] offset:16
	global_load_dwordx4 v[52:55], v20, s[12:13] offset:32
	;; [unrolled: 1-line block ×5, first 2 shown]
	ds_read2_b32 v[39:40], v0 offset0:91 offset1:182
	ds_read2_b32 v[68:69], v32 offset0:17 offset1:108
	;; [unrolled: 1-line block ×6, first 2 shown]
	ds_read_b32 v28, v31
	s_waitcnt vmcnt(0) lgkmcnt(0)
	s_barrier
	buffer_gl0_inv
	v_mul_f32_e32 v78, v39, v45
	v_mul_f32_e32 v42, v12, v45
	;; [unrolled: 1-line block ×22, first 2 shown]
	v_fmac_f32_e32 v78, v12, v44
	v_fma_f32 v44, v39, v44, -v42
	v_mul_f32_e32 v20, v77, v67
	v_mul_f32_e32 v65, v7, v67
	v_fmac_f32_e32 v41, v13, v46
	v_fma_f32 v42, v40, v46, -v45
	v_fmac_f32_e32 v30, v16, v48
	v_fmac_f32_e32 v29, v17, v50
	v_fma_f32 v17, v68, v48, -v47
	v_fma_f32 v16, v69, v50, -v49
	v_fmac_f32_e32 v21, v6, v64
	v_fma_f32 v6, v76, v64, -v63
	v_add_f32_e32 v49, v28, v44
	v_add_f32_e32 v48, v38, v78
	v_fmac_f32_e32 v26, v15, v54
	v_fmac_f32_e32 v23, v8, v60
	v_fma_f32 v8, v77, v66, -v65
	v_fmac_f32_e32 v22, v9, v62
	v_fma_f32 v9, v75, v62, -v61
	v_fmac_f32_e32 v20, v7, v66
	v_sub_f32_e32 v47, v42, v6
	v_add_f32_e32 v15, v41, v21
	v_add_f32_e32 v46, v42, v6
	v_sub_f32_e32 v7, v41, v21
	v_add_f32_e32 v42, v49, v42
	v_add_f32_e32 v41, v48, v41
	v_fmac_f32_e32 v27, v14, v52
	v_fma_f32 v14, v70, v52, -v51
	v_fma_f32 v13, v71, v54, -v53
	v_fmac_f32_e32 v25, v10, v56
	v_fmac_f32_e32 v24, v11, v58
	v_fma_f32 v11, v73, v58, -v57
	v_fma_f32 v10, v74, v60, -v59
	v_sub_f32_e32 v51, v44, v8
	v_add_f32_e32 v50, v44, v8
	v_sub_f32_e32 v52, v17, v9
	v_add_f32_e32 v44, v30, v22
	v_add_f32_e32 v54, v17, v9
	v_sub_f32_e32 v45, v30, v22
	v_add_f32_e32 v17, v42, v17
	v_add_f32_e32 v30, v41, v30
	v_fma_f32 v12, v72, v56, -v55
	v_sub_f32_e32 v39, v78, v20
	v_sub_f32_e32 v55, v16, v10
	v_add_f32_e32 v53, v29, v23
	v_add_f32_e32 v56, v16, v10
	v_sub_f32_e32 v57, v29, v23
	v_sub_f32_e32 v58, v14, v11
	v_add_f32_e32 v60, v14, v11
	v_mul_f32_e32 v65, 0x3f62ad3f, v50
	v_mul_f32_e32 v67, 0x3f116cb1, v50
	;; [unrolled: 1-line block ×6, first 2 shown]
	v_add_f32_e32 v29, v30, v29
	v_add_f32_e32 v16, v17, v16
	;; [unrolled: 1-line block ×3, first 2 shown]
	v_mul_f32_e32 v64, 0xbeedf032, v51
	v_add_f32_e32 v59, v27, v24
	v_sub_f32_e32 v61, v27, v24
	v_mul_f32_e32 v66, 0xbf52af12, v51
	v_mul_f32_e32 v68, 0xbf7e222b, v51
	;; [unrolled: 1-line block ×53, first 2 shown]
	v_fmamk_f32 v113, v39, 0x3eedf032, v65
	v_fmamk_f32 v119, v39, 0x3f6f5d39, v71
	v_fmac_f32_e32 v71, 0xbf6f5d39, v39
	v_fmamk_f32 v122, v39, 0x3e750f2a, v50
	v_add_f32_e32 v27, v29, v27
	v_add_f32_e32 v14, v16, v14
	v_fmamk_f32 v112, v40, 0x3f62ad3f, v64
	v_fma_f32 v64, 0x3f62ad3f, v40, -v64
	v_fmac_f32_e32 v65, 0xbeedf032, v39
	v_fmamk_f32 v115, v39, 0x3f52af12, v67
	v_add_f32_e32 v62, v26, v25
	v_sub_f32_e32 v63, v13, v12
	v_fmamk_f32 v114, v40, 0x3f116cb1, v66
	v_fma_f32 v66, 0x3f116cb1, v40, -v66
	v_fmac_f32_e32 v67, 0xbf52af12, v39
	v_fmamk_f32 v116, v40, 0x3df6dbef, v68
	v_fmamk_f32 v117, v39, 0x3f7e222b, v69
	v_fma_f32 v68, 0x3df6dbef, v40, -v68
	v_fmac_f32_e32 v69, 0xbf7e222b, v39
	v_fmamk_f32 v118, v40, 0xbeb58ec6, v70
	v_fma_f32 v70, 0xbeb58ec6, v40, -v70
	v_fmamk_f32 v120, v40, 0xbf3f9e67, v72
	v_fma_f32 v72, 0xbf3f9e67, v40, -v72
	;; [unrolled: 2-line block ×3, first 2 shown]
	v_fmamk_f32 v51, v39, 0x3f29c268, v73
	v_fmac_f32_e32 v73, 0xbf29c268, v39
	v_fmac_f32_e32 v50, 0xbe750f2a, v39
	v_fmamk_f32 v39, v15, 0x3f116cb1, v74
	v_fma_f32 v74, 0x3f116cb1, v15, -v74
	v_fmamk_f32 v123, v15, 0xbeb58ec6, v75
	v_fma_f32 v75, 0xbeb58ec6, v15, -v75
	v_fmamk_f32 v124, v15, 0xbf788fa5, v76
	v_fma_f32 v76, 0xbf788fa5, v15, -v76
	v_fmamk_f32 v125, v15, 0xbf3f9e67, v77
	v_fma_f32 v77, 0xbf3f9e67, v15, -v77
	v_fmamk_f32 v126, v15, 0x3df6dbef, v78
	v_fma_f32 v78, 0x3df6dbef, v15, -v78
	v_fmamk_f32 v127, v15, 0x3f62ad3f, v47
	v_fma_f32 v15, 0x3f62ad3f, v15, -v47
	v_fmamk_f32 v47, v7, 0x3f52af12, v48
	v_fmac_f32_e32 v48, 0xbf52af12, v7
	v_fmamk_f32 v128, v7, 0x3f6f5d39, v49
	v_fmac_f32_e32 v49, 0xbf6f5d39, v7
	v_fmamk_f32 v129, v7, 0x3e750f2a, v79
	v_fmac_f32_e32 v79, 0xbe750f2a, v7
	v_fmamk_f32 v130, v7, 0xbf29c268, v80
	v_fmac_f32_e32 v80, 0x3f29c268, v7
	v_fmamk_f32 v131, v7, 0xbf7e222b, v81
	v_fmac_f32_e32 v81, 0x3f7e222b, v7
	v_fmamk_f32 v132, v7, 0xbeedf032, v46
	v_fmac_f32_e32 v46, 0x3eedf032, v7
	v_fmamk_f32 v7, v44, 0x3df6dbef, v82
	v_fma_f32 v82, 0x3df6dbef, v44, -v82
	v_fmamk_f32 v133, v44, 0xbf788fa5, v83
	v_fma_f32 v83, 0xbf788fa5, v44, -v83
	v_fmamk_f32 v134, v44, 0xbeb58ec6, v84
	v_fma_f32 v84, 0xbeb58ec6, v44, -v84
	v_fmamk_f32 v135, v44, 0x3f62ad3f, v85
	v_fma_f32 v85, 0x3f62ad3f, v44, -v85
	v_fmamk_f32 v136, v44, 0x3f116cb1, v86
	v_fma_f32 v86, 0x3f116cb1, v44, -v86
	v_fmamk_f32 v137, v44, 0xbf3f9e67, v52
	v_fma_f32 v44, 0xbf3f9e67, v44, -v52
	v_fmamk_f32 v41, v45, 0x3f7e222b, v87
	v_fmac_f32_e32 v87, 0xbf7e222b, v45
	v_fmamk_f32 v42, v45, 0x3e750f2a, v88
	v_fmac_f32_e32 v88, 0xbe750f2a, v45
	v_fmamk_f32 v52, v45, 0xbf6f5d39, v89
	v_fmac_f32_e32 v89, 0x3f6f5d39, v45
	v_fmamk_f32 v138, v45, 0xbeedf032, v90
	v_fmac_f32_e32 v90, 0x3eedf032, v45
	v_fmamk_f32 v139, v45, 0x3f52af12, v91
	v_fmac_f32_e32 v91, 0xbf52af12, v45
	v_fmamk_f32 v140, v45, 0x3f29c268, v54
	;; [unrolled: 24-line block ×4, first 2 shown]
	v_fmac_f32_e32 v60, 0xbf6f5d39, v61
	v_add_f32_e32 v61, v13, v12
	v_sub_f32_e32 v30, v26, v25
	v_add_f32_e32 v113, v28, v113
	v_add_f32_e32 v71, v28, v71
	;; [unrolled: 1-line block ×47, first 2 shown]
	v_mul_f32_e32 v40, 0xbf788fa5, v61
	v_add_f32_e32 v49, v49, v67
	v_add_f32_e32 v75, v129, v117
	v_add_f32_e32 v13, v55, v38
	v_add_f32_e32 v14, v150, v14
	v_add_f32_e32 v23, v24, v23
	v_add_f32_e32 v10, v11, v10
	v_mul_f32_e32 v17, 0xbe750f2a, v63
	v_mul_f32_e32 v29, 0x3f62ad3f, v61
	v_add_f32_e32 v67, v124, v116
	v_add_f32_e32 v68, v76, v68
	;; [unrolled: 1-line block ×13, first 2 shown]
	v_fmamk_f32 v74, v30, 0x3e750f2a, v40
	v_add_f32_e32 v48, v88, v49
	v_add_f32_e32 v52, v52, v75
	;; [unrolled: 1-line block ×6, first 2 shown]
	v_mul_f32_e32 v50, 0x3eedf032, v63
	v_mul_f32_e32 v16, 0xbf29c268, v63
	v_fmamk_f32 v113, v62, 0xbf788fa5, v17
	v_fma_f32 v17, 0xbf788fa5, v62, -v17
	v_fmamk_f32 v123, v30, 0xbeedf032, v29
	v_add_f32_e32 v49, v134, v67
	v_add_f32_e32 v64, v84, v68
	;; [unrolled: 1-line block ×13, first 2 shown]
	v_mul_f32_e32 v112, 0xbf3f9e67, v61
	v_add_f32_e32 v7, v45, v7
	v_add_f32_e32 v42, v98, v48
	;; [unrolled: 1-line block ×7, first 2 shown]
	v_fmamk_f32 v65, v62, 0x3f62ad3f, v50
	v_fma_f32 v50, 0x3f62ad3f, v62, -v50
	v_fmamk_f32 v128, v62, 0xbf3f9e67, v16
	v_add_f32_e32 v72, v78, v72
	v_add_f32_e32 v78, v127, v121
	;; [unrolled: 1-line block ×13, first 2 shown]
	v_fma_f32 v13, 0xbf3f9e67, v62, -v16
	v_mul_f32_e32 v28, 0x3f116cb1, v61
	v_mul_f32_e32 v16, 0xbf6f5d39, v63
	v_add_f32_e32 v39, v108, v42
	v_add_f32_e32 v42, v157, v45
	;; [unrolled: 1-line block ×4, first 2 shown]
	v_fmamk_f32 v8, v30, 0x3f29c268, v112
	v_add_f32_e32 v15, v53, v15
	v_fmac_f32_e32 v40, 0xbe750f2a, v30
	v_fmac_f32_e32 v29, 0x3eedf032, v30
	v_add_f32_e32 v75, v137, v78
	v_add_f32_e32 v41, v152, v44
	;; [unrolled: 1-line block ×9, first 2 shown]
	v_fmamk_f32 v17, v30, 0xbf52af12, v28
	v_fmamk_f32 v38, v62, 0xbeb58ec6, v16
	v_add_f32_e32 v72, v86, v72
	v_add_f32_e32 v9, v65, v26
	;; [unrolled: 1-line block ×3, first 2 shown]
	v_mov_b32_e32 v42, 2
	v_add_f32_e32 v11, v58, v15
	v_mul_f32_e32 v15, 0x3f52af12, v63
	v_add_f32_e32 v67, v145, v75
	v_add_f32_e32 v21, v40, v25
	;; [unrolled: 1-line block ×5, first 2 shown]
	v_mul_f32_e32 v38, 0x3f7e222b, v63
	v_add_f32_e32 v64, v96, v72
	v_add_f32_e32 v7, v57, v7
	v_lshlrev_b32_sdwa v18, v42, v18 dst_sel:DWORD dst_unused:UNUSED_PAD src0_sel:DWORD src1_sel:BYTE_0
	v_add_f32_e32 v8, v13, v44
	v_fmamk_f32 v13, v62, 0x3f116cb1, v15
	v_add_f32_e32 v55, v155, v67
	v_fmamk_f32 v44, v62, 0x3df6dbef, v38
	v_fma_f32 v38, 0x3df6dbef, v62, -v38
	v_add_f32_e32 v53, v106, v64
	v_fma_f32 v15, 0x3f116cb1, v62, -v15
	v_fma_f32 v16, 0xbeb58ec6, v62, -v16
	v_add_f32_e32 v7, v113, v7
	v_add3_u32 v19, v19, v18, v34
	v_add_f32_e32 v14, v128, v41
	v_add_f32_e32 v13, v13, v46
	;; [unrolled: 1-line block ×6, first 2 shown]
	ds_write2_b32 v19, v12, v7 offset1:7
	ds_write2_b32 v19, v9, v14 offset0:14 offset1:21
	ds_write2_b32 v19, v13, v17 offset0:28 offset1:35
	;; [unrolled: 1-line block ×5, first 2 shown]
	ds_write_b32 v19, v10 offset:336
	s_waitcnt lgkmcnt(0)
	s_barrier
	buffer_gl0_inv
	ds_read_b32 v18, v31
	ds_read2_b32 v[14:15], v0 offset0:91 offset1:182
	ds_read2_b32 v[10:11], v32 offset0:17 offset1:108
	;; [unrolled: 1-line block ×6, first 2 shown]
	v_add_f32_e32 v51, v131, v51
	v_add_f32_e32 v73, v81, v73
	v_fmac_f32_e32 v112, 0xbf29c268, v30
	v_mul_f32_e32 v40, 0xbeb58ec6, v61
	v_add_f32_e32 v27, v56, v27
	v_add_f32_e32 v51, v139, v51
	;; [unrolled: 1-line block ×4, first 2 shown]
	v_mul_f32_e32 v45, 0x3df6dbef, v61
	v_add_f32_e32 v54, v100, v70
	v_add_f32_e32 v51, v149, v51
	;; [unrolled: 1-line block ×3, first 2 shown]
	v_fmamk_f32 v41, v30, 0x3f6f5d39, v40
	v_add_f32_e32 v27, v60, v27
	v_fmamk_f32 v44, v30, 0xbf7e222b, v45
	v_add_f32_e32 v51, v159, v51
	v_fmac_f32_e32 v45, 0x3f7e222b, v30
	v_add_f32_e32 v49, v110, v54
	v_add_f32_e32 v54, v111, v66
	v_fmac_f32_e32 v28, 0x3f52af12, v30
	v_fmac_f32_e32 v40, 0xbf6f5d39, v30
	v_add_f32_e32 v30, v41, v51
	v_add_f32_e32 v24, v44, v24
	v_add_f32_e32 v27, v45, v27
	v_add_f32_e32 v28, v28, v49
	v_add_f32_e32 v32, v40, v54
	s_waitcnt lgkmcnt(0)
	s_barrier
	buffer_gl0_inv
	ds_write2_b32 v19, v20, v22 offset1:7
	ds_write2_b32 v19, v23, v26 offset0:14 offset1:21
	ds_write2_b32 v19, v39, v30 offset0:28 offset1:35
	;; [unrolled: 1-line block ×5, first 2 shown]
	ds_write_b32 v19, v21 offset:336
	s_waitcnt lgkmcnt(0)
	s_barrier
	buffer_gl0_inv
	s_and_saveexec_b32 s0, vcc_lo
	s_cbranch_execz .LBB0_21
; %bb.20:
	v_mul_u32_u24_e32 v19, 12, v43
	v_add_nc_u32_e32 v26, 0xe00, v0
	v_add_nc_u32_e32 v27, 0x400, v0
	;; [unrolled: 1-line block ×4, first 2 shown]
	v_lshlrev_b32_e32 v19, 3, v19
	v_mul_lo_u32 v24, s3, v4
	v_mul_lo_u32 v25, s2, v5
	v_mad_u64_u32 v[4:5], null, s2, v4, 0
	s_clause 0x5
	global_load_dwordx4 v[20:23], v19, s[12:13] offset:672
	global_load_dwordx4 v[34:37], v19, s[12:13] offset:752
	;; [unrolled: 1-line block ×6, first 2 shown]
	ds_read2_b32 v[38:39], v0 offset0:91 offset1:182
	v_add_nc_u32_e32 v0, 0x800, v0
	ds_read_b32 v19, v31
	ds_read2_b32 v[40:41], v26 offset0:105 offset1:196
	ds_read2_b32 v[59:60], v27 offset0:17 offset1:108
	;; [unrolled: 1-line block ×5, first 2 shown]
	v_add3_u32 v5, v5, v25, v24
	s_waitcnt vmcnt(5)
	v_mul_f32_e32 v31, v14, v20
	s_waitcnt vmcnt(4)
	v_mul_f32_e32 v0, v17, v36
	v_mul_f32_e32 v17, v17, v37
	;; [unrolled: 1-line block ×7, first 2 shown]
	s_waitcnt vmcnt(2)
	v_mul_f32_e32 v15, v13, v49
	v_mul_f32_e32 v67, v13, v50
	;; [unrolled: 1-line block ×4, first 2 shown]
	s_waitcnt vmcnt(1)
	v_mul_f32_e32 v33, v7, v53
	s_waitcnt vmcnt(0)
	v_mul_f32_e32 v32, v8, v55
	s_waitcnt lgkmcnt(6)
	v_fmac_f32_e32 v31, v38, v21
	s_waitcnt lgkmcnt(4)
	v_fmac_f32_e32 v0, v41, v37
	v_fma_f32 v12, v41, v36, -v17
	v_fma_f32 v42, v38, v20, -v24
	v_mul_f32_e32 v28, v10, v43
	v_mul_f32_e32 v10, v10, v44
	;; [unrolled: 1-line block ×9, first 2 shown]
	v_fmac_f32_e32 v29, v39, v23
	v_fmac_f32_e32 v14, v40, v35
	v_fma_f32 v24, v40, v34, -v16
	v_fma_f32 v41, v39, v22, -v30
	s_waitcnt lgkmcnt(2)
	v_fmac_f32_e32 v15, v62, v50
	s_waitcnt lgkmcnt(1)
	v_fmac_f32_e32 v33, v64, v54
	;; [unrolled: 2-line block ×3, first 2 shown]
	v_sub_f32_e32 v23, v31, v0
	v_add_f32_e32 v54, v42, v12
	v_sub_f32_e32 v50, v42, v12
	v_mul_f32_e32 v9, v9, v58
	v_fmac_f32_e32 v28, v59, v44
	v_fma_f32 v30, v62, v49, -v67
	v_fma_f32 v40, v59, v43, -v10
	;; [unrolled: 1-line block ×4, first 2 shown]
	v_fmac_f32_e32 v25, v66, v58
	v_fma_f32 v38, v63, v51, -v6
	v_fma_f32 v36, v65, v55, -v8
	;; [unrolled: 1-line block ×3, first 2 shown]
	v_sub_f32_e32 v11, v29, v14
	v_add_f32_e32 v55, v41, v24
	v_sub_f32_e32 v6, v33, v32
	v_add_f32_e32 v22, v31, v0
	v_sub_f32_e32 v49, v41, v24
	v_mul_f32_e32 v58, 0xbf52af12, v23
	v_mul_f32_e32 v64, 0xbf52af12, v50
	;; [unrolled: 1-line block ×10, first 2 shown]
	v_fmac_f32_e32 v27, v60, v46
	v_fmac_f32_e32 v13, v61, v48
	v_fmac_f32_e32 v26, v63, v52
	v_sub_f32_e32 v10, v28, v15
	v_add_f32_e32 v56, v40, v30
	v_add_f32_e32 v43, v37, v36
	;; [unrolled: 1-line block ×3, first 2 shown]
	v_sub_f32_e32 v48, v40, v30
	v_mul_f32_e32 v59, 0xbf6f5d39, v11
	v_mul_f32_e32 v63, 0x3eedf032, v6
	;; [unrolled: 1-line block ×10, first 2 shown]
	v_fmamk_f32 v119, v54, 0x3f116cb1, v58
	v_fma_f32 v125, 0x3f116cb1, v22, -v64
	v_fmamk_f32 v131, v54, 0xbeb58ec6, v68
	v_fma_f32 v137, 0xbeb58ec6, v22, -v74
	;; [unrolled: 2-line block ×4, first 2 shown]
	v_fma_f32 v157, 0xbf788fa5, v22, -v98
	v_fmac_f32_e32 v74, 0xbeb58ec6, v22
	v_fmamk_f32 v163, v23, 0x3f7e222b, v104
	v_fmamk_f32 v167, v22, 0x3df6dbef, v109
	v_fma_f32 v35, v66, v57, -v9
	v_sub_f32_e32 v8, v27, v13
	v_add_f32_e32 v57, v39, v34
	v_add_f32_e32 v20, v28, v15
	v_sub_f32_e32 v47, v39, v34
	v_mul_f32_e32 v60, 0xbe750f2a, v10
	v_mul_f32_e32 v66, 0xbe750f2a, v48
	;; [unrolled: 1-line block ×11, first 2 shown]
	v_fmamk_f32 v120, v55, 0xbeb58ec6, v59
	v_fmamk_f32 v124, v43, 0x3f62ad3f, v63
	v_fma_f32 v126, 0xbeb58ec6, v21, -v65
	v_fmamk_f32 v132, v55, 0xbf3f9e67, v69
	v_fma_f32 v138, 0xbf3f9e67, v21, -v75
	;; [unrolled: 2-line block ×3, first 2 shown]
	v_fma_f32 v92, 0xbf788fa5, v54, -v92
	v_fma_f32 v80, 0xbf3f9e67, v54, -v80
	;; [unrolled: 1-line block ×3, first 2 shown]
	v_fmamk_f32 v58, v55, 0x3f62ad3f, v93
	v_fma_f32 v69, 0xbf3f9e67, v55, -v69
	v_fmac_f32_e32 v98, 0xbf788fa5, v22
	v_fmac_f32_e32 v86, 0xbf3f9e67, v22
	;; [unrolled: 1-line block ×3, first 2 shown]
	v_fmamk_f32 v164, v11, 0x3e750f2a, v105
	v_fmamk_f32 v168, v21, 0xbf788fa5, v110
	v_fmac_f32_e32 v64, 0x3f116cb1, v22
	v_fma_f32 v177, 0x3f62ad3f, v43, -v63
	v_add_f32_e32 v63, v19, v119
	v_add_f32_e32 v119, v18, v125
	v_add_f32_e32 v125, v19, v131
	v_add_f32_e32 v131, v18, v137
	v_add_f32_e32 v137, v19, v143
	v_add_f32_e32 v143, v18, v149
	v_add_f32_e32 v149, v19, v154
	v_add_f32_e32 v154, v18, v157
	v_add_f32_e32 v68, v19, v68
	v_add_f32_e32 v74, v18, v74
	v_add_f32_e32 v157, v19, v163
	v_add_f32_e32 v163, v18, v167
	v_sub_f32_e32 v7, v26, v25
	v_add_f32_e32 v46, v38, v35
	v_add_f32_e32 v17, v27, v13
	v_sub_f32_e32 v45, v38, v35
	v_mul_f32_e32 v61, 0x3f29c268, v8
	v_mul_f32_e32 v67, 0x3f29c268, v47
	;; [unrolled: 1-line block ×10, first 2 shown]
	v_fmamk_f32 v121, v56, 0xbf788fa5, v60
	v_fma_f32 v127, 0xbf788fa5, v20, -v66
	v_fmamk_f32 v133, v56, 0x3f62ad3f, v70
	v_fma_f32 v139, 0x3f62ad3f, v20, -v76
	;; [unrolled: 2-line block ×3, first 2 shown]
	v_fma_f32 v93, 0x3f62ad3f, v55, -v93
	v_fma_f32 v81, 0x3df6dbef, v55, -v81
	;; [unrolled: 1-line block ×3, first 2 shown]
	v_fmamk_f32 v59, v56, 0xbf3f9e67, v94
	v_fma_f32 v70, 0x3f62ad3f, v56, -v70
	v_fma_f32 v158, 0x3f62ad3f, v21, -v99
	v_fmac_f32_e32 v99, 0x3f62ad3f, v21
	v_fmac_f32_e32 v87, 0x3df6dbef, v21
	;; [unrolled: 1-line block ×3, first 2 shown]
	v_fmamk_f32 v165, v10, 0xbf6f5d39, v106
	v_fmac_f32_e32 v65, 0xbeb58ec6, v21
	v_fmamk_f32 v173, v20, 0xbeb58ec6, v111
	v_add_f32_e32 v92, v19, v92
	v_add_f32_e32 v98, v18, v98
	;; [unrolled: 1-line block ×18, first 2 shown]
	v_sub_f32_e32 v44, v37, v36
	v_mul_f32_e32 v52, 0x3f7e222b, v45
	v_mul_f32_e32 v72, 0x3e750f2a, v7
	;; [unrolled: 1-line block ×9, first 2 shown]
	v_fmamk_f32 v122, v57, 0xbf3f9e67, v61
	v_fma_f32 v128, 0xbf3f9e67, v17, -v67
	v_fmamk_f32 v134, v57, 0x3df6dbef, v71
	v_fma_f32 v140, 0x3df6dbef, v17, -v77
	;; [unrolled: 2-line block ×3, first 2 shown]
	v_fma_f32 v94, 0xbf3f9e67, v56, -v94
	v_fma_f32 v82, 0x3f116cb1, v56, -v82
	;; [unrolled: 1-line block ×3, first 2 shown]
	v_fmamk_f32 v60, v57, 0x3f116cb1, v95
	v_fma_f32 v71, 0x3df6dbef, v57, -v71
	v_fmac_f32_e32 v77, 0x3df6dbef, v17
	v_fmamk_f32 v166, v8, 0xbeedf032, v107
	v_fmamk_f32 v169, v23, 0x3eedf032, v115
	;; [unrolled: 1-line block ×3, first 2 shown]
	v_fmac_f32_e32 v66, 0xbf788fa5, v20
	v_add_f32_e32 v92, v92, v93
	v_add_f32_e32 v93, v98, v99
	v_add_f32_e32 v80, v80, v81
	v_add_f32_e32 v81, v86, v87
	v_add_f32_e32 v54, v54, v55
	v_add_f32_e32 v55, v64, v65
	v_add_f32_e32 v63, v63, v121
	v_add_f32_e32 v64, v119, v127
	v_add_f32_e32 v65, v120, v133
	v_add_f32_e32 v87, v125, v139
	v_add_f32_e32 v98, v126, v145
	v_add_f32_e32 v99, v131, v151
	v_add_f32_e32 v58, v58, v59
	v_add_f32_e32 v68, v68, v70
	v_add_f32_e32 v69, v69, v76
	v_add_f32_e32 v70, v74, v165
	v_add_f32_e32 v74, v75, v173
	v_add_f32_e32 v9, v33, v32
	v_mul_f32_e32 v73, 0x3f52af12, v6
	v_mul_f32_e32 v79, 0x3f52af12, v44
	;; [unrolled: 1-line block ×7, first 2 shown]
	v_fma_f32 v129, 0x3df6dbef, v16, -v52
	v_fmamk_f32 v135, v46, 0xbf788fa5, v72
	v_fma_f32 v141, 0xbf788fa5, v16, -v78
	v_fmamk_f32 v147, v46, 0x3f62ad3f, v84
	v_fma_f32 v153, 0x3f62ad3f, v16, -v90
	v_fma_f32 v95, 0x3f116cb1, v57, -v95
	;; [unrolled: 1-line block ×4, first 2 shown]
	v_fmamk_f32 v155, v46, 0xbeb58ec6, v96
	v_fma_f32 v72, 0xbf788fa5, v46, -v72
	v_fmac_f32_e32 v78, 0xbf788fa5, v16
	v_fmamk_f32 v170, v11, 0x3f52af12, v116
	v_fmamk_f32 v171, v7, 0x3f52af12, v108
	v_fmamk_f32 v175, v16, 0x3f116cb1, v113
	v_fmac_f32_e32 v67, 0xbf3f9e67, v17
	v_add_f32_e32 v167, v19, v169
	v_add_f32_e32 v54, v54, v56
	;; [unrolled: 1-line block ×16, first 2 shown]
	v_mul_f32_e32 v62, 0x3f7e222b, v7
	v_fmamk_f32 v136, v43, 0x3f116cb1, v73
	v_fma_f32 v142, 0x3f116cb1, v9, -v79
	v_fma_f32 v61, 0xbeb58ec6, v9, -v91
	v_fmamk_f32 v156, v43, 0x3df6dbef, v97
	v_fma_f32 v73, 0x3f116cb1, v43, -v73
	v_fmac_f32_e32 v79, 0x3f116cb1, v9
	v_fmamk_f32 v172, v6, 0x3f29c268, v53
	v_fmamk_f32 v176, v9, 0xbf3f9e67, v114
	;; [unrolled: 1-line block ×3, first 2 shown]
	v_add_f32_e32 v86, v167, v170
	v_add_f32_e32 v54, v54, v57
	;; [unrolled: 1-line block ×15, first 2 shown]
	v_fmamk_f32 v123, v46, 0x3df6dbef, v62
	v_fma_f32 v96, 0xbeb58ec6, v46, -v96
	v_fma_f32 v84, 0x3f62ad3f, v46, -v84
	;; [unrolled: 1-line block ×3, first 2 shown]
	v_add_f32_e32 v58, v66, v61
	v_add_f32_e32 v61, v67, v156
	;; [unrolled: 1-line block ×7, first 2 shown]
	v_fmamk_f32 v71, v8, 0x3f6f5d39, v118
	v_mul_f32_e32 v46, 0xbf3f9e67, v46
	v_mul_f32_e32 v50, 0xbeedf032, v50
	v_add_f32_e32 v40, v41, v40
	v_add_f32_e32 v28, v29, v28
	;; [unrolled: 1-line block ×3, first 2 shown]
	v_fmamk_f32 v42, v7, 0x3f29c268, v46
	v_fmamk_f32 v70, v22, 0x3f62ad3f, v50
	v_mul_f32_e32 v29, 0xbf52af12, v49
	v_add_f32_e32 v39, v40, v39
	v_add_f32_e32 v27, v28, v27
	;; [unrolled: 1-line block ×4, first 2 shown]
	v_fmamk_f32 v28, v21, 0x3f116cb1, v29
	v_mul_f32_e32 v40, 0xbf7e222b, v48
	v_mul_f32_e32 v42, 0xbf788fa5, v43
	v_add_f32_e32 v38, v39, v38
	v_add_f32_e32 v26, v27, v26
	;; [unrolled: 1-line block ×3, first 2 shown]
	v_fmamk_f32 v28, v20, 0x3df6dbef, v40
	v_mul_f32_e32 v39, 0xbf6f5d39, v47
	v_add_f32_e32 v37, v38, v37
	v_add_f32_e32 v26, v26, v33
	v_fmamk_f32 v33, v6, 0x3e750f2a, v42
	v_add_f32_e32 v27, v27, v28
	v_fmamk_f32 v28, v17, 0xbeb58ec6, v39
	v_add_f32_e32 v36, v37, v36
	v_add_f32_e32 v32, v26, v32
	;; [unrolled: 1-line block ×3, first 2 shown]
	v_mul_f32_e32 v31, 0xbf29c268, v45
	v_add_f32_e32 v27, v27, v28
	v_add_f32_e32 v28, v35, v36
	;; [unrolled: 1-line block ×3, first 2 shown]
	v_fmac_f32_e32 v104, 0xbf7e222b, v23
	v_fmamk_f32 v32, v16, 0xbf3f9e67, v31
	v_mul_f32_e32 v33, 0xbe750f2a, v44
	v_add_f32_e32 v28, v34, v28
	v_add_f32_e32 v13, v13, v25
	v_add_f32_e32 v25, v19, v104
	v_fmac_f32_e32 v105, 0xbe750f2a, v11
	v_add_f32_e32 v27, v27, v32
	v_fmamk_f32 v32, v9, 0xbf788fa5, v33
	v_add_f32_e32 v28, v30, v28
	v_add_f32_e32 v13, v15, v13
	;; [unrolled: 1-line block ×3, first 2 shown]
	v_fmac_f32_e32 v106, 0x3f6f5d39, v10
	v_add_f32_e32 v25, v27, v32
	v_fma_f32 v27, 0x3df6dbef, v22, -v109
	v_add_f32_e32 v24, v24, v28
	v_add_f32_e32 v14, v14, v13
	;; [unrolled: 1-line block ×3, first 2 shown]
	v_fmac_f32_e32 v107, 0x3eedf032, v8
	v_add_f32_e32 v27, v18, v27
	v_fma_f32 v28, 0xbf788fa5, v21, -v110
	v_add_f32_e32 v13, v12, v24
	v_add_f32_e32 v12, v0, v14
	;; [unrolled: 1-line block ×3, first 2 shown]
	v_fma_f32 v15, 0xbeb58ec6, v20, -v111
	v_add_f32_e32 v14, v27, v28
	v_fma_f32 v22, 0x3f62ad3f, v22, -v50
	v_fmac_f32_e32 v108, 0xbf52af12, v7
	v_fmac_f32_e32 v116, 0xbf52af12, v11
	;; [unrolled: 1-line block ×3, first 2 shown]
	v_add_f32_e32 v11, v14, v15
	v_add_f32_e32 v14, v18, v22
	v_fma_f32 v15, 0x3f116cb1, v21, -v29
	v_fma_f32 v18, 0x3f62ad3f, v17, -v112
	v_add_f32_e32 v10, v0, v108
	v_fmac_f32_e32 v118, 0xbf6f5d39, v8
	v_fma_f32 v8, 0x3f116cb1, v16, -v113
	v_add_f32_e32 v0, v14, v15
	v_fma_f32 v14, 0x3df6dbef, v20, -v40
	v_add_f32_e32 v11, v11, v18
	v_fmac_f32_e32 v46, 0xbf29c268, v7
	v_mul_f32_e32 v100, 0xbf29c268, v48
	v_fmac_f32_e32 v115, 0xbeedf032, v23
	v_add_f32_e32 v0, v0, v14
	v_fma_f32 v14, 0xbeb58ec6, v17, -v39
	v_add_f32_e32 v11, v11, v8
	v_lshlrev_b64 v[7:8], 3, v[4:5]
	v_mul_f32_e32 v85, 0xbf6f5d39, v6
	v_fmac_f32_e32 v88, 0x3f116cb1, v20
	v_add_f32_e32 v0, v0, v14
	v_fma_f32 v14, 0xbf3f9e67, v16, -v31
	v_fmac_f32_e32 v53, 0xbf29c268, v6
	v_fmac_f32_e32 v42, 0xbe750f2a, v6
	v_mov_b32_e32 v4, 0
	v_mul_f32_e32 v101, 0x3f52af12, v47
	v_add_f32_e32 v6, v0, v14
	v_lshlrev_b64 v[0:1], 3, v[1:2]
	v_fma_f32 v159, 0xbf3f9e67, v20, -v100
	v_fmac_f32_e32 v100, 0xbf3f9e67, v20
	v_add_co_u32 v5, vcc_lo, s10, v7
	v_add_f32_e32 v132, v154, v158
	v_add_f32_e32 v19, v19, v115
	v_add_co_ci_u32_e32 v7, vcc_lo, s11, v8, vcc_lo
	v_fmac_f32_e32 v89, 0xbf788fa5, v17
	v_add_f32_e32 v80, v80, v82
	v_add_f32_e32 v81, v81, v88
	v_lshlrev_b64 v[2:3], 3, v[3:4]
	v_mul_f32_e32 v102, 0xbf6f5d39, v45
	v_fma_f32 v160, 0x3f116cb1, v17, -v101
	v_fmac_f32_e32 v101, 0x3f116cb1, v17
	v_add_f32_e32 v92, v92, v94
	v_add_f32_e32 v93, v93, v100
	v_add_co_u32 v0, vcc_lo, v5, v0
	v_mul_f32_e32 v51, 0x3eedf032, v44
	v_fmac_f32_e32 v52, 0x3df6dbef, v16
	v_add_f32_e32 v59, v132, v159
	v_add_f32_e32 v19, v19, v116
	v_add_co_ci_u32_e32 v1, vcc_lo, v7, v1, vcc_lo
	v_fmac_f32_e32 v90, 0x3f62ad3f, v16
	v_add_f32_e32 v80, v80, v83
	v_add_f32_e32 v81, v81, v89
	v_mul_f32_e32 v103, 0x3f7e222b, v44
	v_fma_f32 v161, 0xbeb58ec6, v16, -v102
	v_fmac_f32_e32 v102, 0xbeb58ec6, v16
	v_add_f32_e32 v60, v92, v95
	v_add_f32_e32 v76, v93, v101
	v_fma_f32 v4, 0xbf788fa5, v9, -v33
	v_add_co_u32 v0, vcc_lo, v0, v2
	v_fma_f32 v130, 0x3f62ad3f, v9, -v51
	v_fmac_f32_e32 v51, 0x3f62ad3f, v9
	v_add_f32_e32 v59, v59, v160
	v_add_f32_e32 v72, v54, v62
	;; [unrolled: 1-line block ×4, first 2 shown]
	v_add_co_ci_u32_e32 v1, vcc_lo, v1, v3, vcc_lo
	v_fmamk_f32 v148, v43, 0xbeb58ec6, v85
	v_fma_f32 v85, 0xbeb58ec6, v43, -v85
	v_fmac_f32_e32 v91, 0xbeb58ec6, v9
	v_add_f32_e32 v56, v56, v123
	v_add_f32_e32 v77, v80, v84
	;; [unrolled: 1-line block ×3, first 2 shown]
	v_fma_f32 v162, 0x3df6dbef, v9, -v103
	v_fma_f32 v97, 0x3df6dbef, v43, -v97
	v_fmac_f32_e32 v103, 0x3df6dbef, v9
	v_add_f32_e32 v75, v60, v96
	v_add_f32_e32 v76, v76, v102
	;; [unrolled: 1-line block ×3, first 2 shown]
	v_add_co_u32 v6, vcc_lo, 0x800, v0
	v_add_f32_e32 v74, v59, v161
	v_add_f32_e32 v52, v72, v177
	;; [unrolled: 1-line block ×4, first 2 shown]
	v_add_co_ci_u32_e32 v7, vcc_lo, 0, v1, vcc_lo
	v_add_co_u32 v8, vcc_lo, 0x1000, v0
	v_add_f32_e32 v55, v56, v124
	v_add_f32_e32 v56, v64, v142
	;; [unrolled: 1-line block ×5, first 2 shown]
	v_fma_f32 v16, 0xbf3f9e67, v9, -v114
	v_add_f32_e32 v54, v57, v130
	v_add_f32_e32 v57, v63, v136
	;; [unrolled: 1-line block ×4, first 2 shown]
	v_add_co_ci_u32_e32 v9, vcc_lo, 0, v1, vcc_lo
	v_add_f32_e32 v60, v74, v162
	v_add_f32_e32 v15, v15, v46
	global_store_dwordx2 v[0:1], v[12:13], off
	global_store_dwordx2 v[0:1], v[25:26], off offset:728
	global_store_dwordx2 v[0:1], v[51:52], off offset:1456
	;; [unrolled: 1-line block ×7, first 2 shown]
	v_add_co_u32 v6, vcc_lo, 0x1800, v0
	v_add_co_ci_u32_e32 v7, vcc_lo, 0, v1, vcc_lo
	v_add_f32_e32 v3, v10, v53
	v_add_f32_e32 v2, v11, v16
	v_add_co_u32 v0, vcc_lo, 0x2000, v0
	v_add_f32_e32 v5, v15, v42
	v_add_co_ci_u32_e32 v1, vcc_lo, 0, v1, vcc_lo
	global_store_dwordx2 v[8:9], v[58:59], off offset:1728
	global_store_dwordx2 v[6:7], v[56:57], off offset:408
	;; [unrolled: 1-line block ×5, first 2 shown]
.LBB0_21:
	s_endpgm
	.section	.rodata,"a",@progbits
	.p2align	6, 0x0
	.amdhsa_kernel fft_rtc_back_len1183_factors_7_13_13_wgs_182_tpt_91_halfLds_sp_op_CI_CI_unitstride_sbrr_dirReg
		.amdhsa_group_segment_fixed_size 0
		.amdhsa_private_segment_fixed_size 0
		.amdhsa_kernarg_size 104
		.amdhsa_user_sgpr_count 6
		.amdhsa_user_sgpr_private_segment_buffer 1
		.amdhsa_user_sgpr_dispatch_ptr 0
		.amdhsa_user_sgpr_queue_ptr 0
		.amdhsa_user_sgpr_kernarg_segment_ptr 1
		.amdhsa_user_sgpr_dispatch_id 0
		.amdhsa_user_sgpr_flat_scratch_init 0
		.amdhsa_user_sgpr_private_segment_size 0
		.amdhsa_wavefront_size32 1
		.amdhsa_uses_dynamic_stack 0
		.amdhsa_system_sgpr_private_segment_wavefront_offset 0
		.amdhsa_system_sgpr_workgroup_id_x 1
		.amdhsa_system_sgpr_workgroup_id_y 0
		.amdhsa_system_sgpr_workgroup_id_z 0
		.amdhsa_system_sgpr_workgroup_info 0
		.amdhsa_system_vgpr_workitem_id 0
		.amdhsa_next_free_vgpr 179
		.amdhsa_next_free_sgpr 27
		.amdhsa_reserve_vcc 1
		.amdhsa_reserve_flat_scratch 0
		.amdhsa_float_round_mode_32 0
		.amdhsa_float_round_mode_16_64 0
		.amdhsa_float_denorm_mode_32 3
		.amdhsa_float_denorm_mode_16_64 3
		.amdhsa_dx10_clamp 1
		.amdhsa_ieee_mode 1
		.amdhsa_fp16_overflow 0
		.amdhsa_workgroup_processor_mode 1
		.amdhsa_memory_ordered 1
		.amdhsa_forward_progress 0
		.amdhsa_shared_vgpr_count 0
		.amdhsa_exception_fp_ieee_invalid_op 0
		.amdhsa_exception_fp_denorm_src 0
		.amdhsa_exception_fp_ieee_div_zero 0
		.amdhsa_exception_fp_ieee_overflow 0
		.amdhsa_exception_fp_ieee_underflow 0
		.amdhsa_exception_fp_ieee_inexact 0
		.amdhsa_exception_int_div_zero 0
	.end_amdhsa_kernel
	.text
.Lfunc_end0:
	.size	fft_rtc_back_len1183_factors_7_13_13_wgs_182_tpt_91_halfLds_sp_op_CI_CI_unitstride_sbrr_dirReg, .Lfunc_end0-fft_rtc_back_len1183_factors_7_13_13_wgs_182_tpt_91_halfLds_sp_op_CI_CI_unitstride_sbrr_dirReg
                                        ; -- End function
	.section	.AMDGPU.csdata,"",@progbits
; Kernel info:
; codeLenInByte = 9796
; NumSgprs: 29
; NumVgprs: 179
; ScratchSize: 0
; MemoryBound: 0
; FloatMode: 240
; IeeeMode: 1
; LDSByteSize: 0 bytes/workgroup (compile time only)
; SGPRBlocks: 3
; VGPRBlocks: 22
; NumSGPRsForWavesPerEU: 29
; NumVGPRsForWavesPerEU: 179
; Occupancy: 5
; WaveLimiterHint : 1
; COMPUTE_PGM_RSRC2:SCRATCH_EN: 0
; COMPUTE_PGM_RSRC2:USER_SGPR: 6
; COMPUTE_PGM_RSRC2:TRAP_HANDLER: 0
; COMPUTE_PGM_RSRC2:TGID_X_EN: 1
; COMPUTE_PGM_RSRC2:TGID_Y_EN: 0
; COMPUTE_PGM_RSRC2:TGID_Z_EN: 0
; COMPUTE_PGM_RSRC2:TIDIG_COMP_CNT: 0
	.text
	.p2alignl 6, 3214868480
	.fill 48, 4, 3214868480
	.type	__hip_cuid_fab96b69350100ae,@object ; @__hip_cuid_fab96b69350100ae
	.section	.bss,"aw",@nobits
	.globl	__hip_cuid_fab96b69350100ae
__hip_cuid_fab96b69350100ae:
	.byte	0                               ; 0x0
	.size	__hip_cuid_fab96b69350100ae, 1

	.ident	"AMD clang version 19.0.0git (https://github.com/RadeonOpenCompute/llvm-project roc-6.4.0 25133 c7fe45cf4b819c5991fe208aaa96edf142730f1d)"
	.section	".note.GNU-stack","",@progbits
	.addrsig
	.addrsig_sym __hip_cuid_fab96b69350100ae
	.amdgpu_metadata
---
amdhsa.kernels:
  - .args:
      - .actual_access:  read_only
        .address_space:  global
        .offset:         0
        .size:           8
        .value_kind:     global_buffer
      - .offset:         8
        .size:           8
        .value_kind:     by_value
      - .actual_access:  read_only
        .address_space:  global
        .offset:         16
        .size:           8
        .value_kind:     global_buffer
      - .actual_access:  read_only
        .address_space:  global
        .offset:         24
        .size:           8
        .value_kind:     global_buffer
      - .actual_access:  read_only
        .address_space:  global
        .offset:         32
        .size:           8
        .value_kind:     global_buffer
      - .offset:         40
        .size:           8
        .value_kind:     by_value
      - .actual_access:  read_only
        .address_space:  global
        .offset:         48
        .size:           8
        .value_kind:     global_buffer
      - .actual_access:  read_only
        .address_space:  global
        .offset:         56
        .size:           8
        .value_kind:     global_buffer
      - .offset:         64
        .size:           4
        .value_kind:     by_value
      - .actual_access:  read_only
        .address_space:  global
        .offset:         72
        .size:           8
        .value_kind:     global_buffer
      - .actual_access:  read_only
        .address_space:  global
        .offset:         80
        .size:           8
        .value_kind:     global_buffer
      - .actual_access:  read_only
        .address_space:  global
        .offset:         88
        .size:           8
        .value_kind:     global_buffer
      - .actual_access:  write_only
        .address_space:  global
        .offset:         96
        .size:           8
        .value_kind:     global_buffer
    .group_segment_fixed_size: 0
    .kernarg_segment_align: 8
    .kernarg_segment_size: 104
    .language:       OpenCL C
    .language_version:
      - 2
      - 0
    .max_flat_workgroup_size: 182
    .name:           fft_rtc_back_len1183_factors_7_13_13_wgs_182_tpt_91_halfLds_sp_op_CI_CI_unitstride_sbrr_dirReg
    .private_segment_fixed_size: 0
    .sgpr_count:     29
    .sgpr_spill_count: 0
    .symbol:         fft_rtc_back_len1183_factors_7_13_13_wgs_182_tpt_91_halfLds_sp_op_CI_CI_unitstride_sbrr_dirReg.kd
    .uniform_work_group_size: 1
    .uses_dynamic_stack: false
    .vgpr_count:     179
    .vgpr_spill_count: 0
    .wavefront_size: 32
    .workgroup_processor_mode: 1
amdhsa.target:   amdgcn-amd-amdhsa--gfx1030
amdhsa.version:
  - 1
  - 2
...

	.end_amdgpu_metadata
